;; amdgpu-corpus repo=ROCm/rocFFT kind=compiled arch=gfx906 opt=O3
	.text
	.amdgcn_target "amdgcn-amd-amdhsa--gfx906"
	.amdhsa_code_object_version 6
	.protected	fft_rtc_back_len968_factors_2_2_2_11_11_wgs_176_tpt_88_sp_ip_CI_unitstride_sbrr_C2R_dirReg ; -- Begin function fft_rtc_back_len968_factors_2_2_2_11_11_wgs_176_tpt_88_sp_ip_CI_unitstride_sbrr_C2R_dirReg
	.globl	fft_rtc_back_len968_factors_2_2_2_11_11_wgs_176_tpt_88_sp_ip_CI_unitstride_sbrr_C2R_dirReg
	.p2align	8
	.type	fft_rtc_back_len968_factors_2_2_2_11_11_wgs_176_tpt_88_sp_ip_CI_unitstride_sbrr_C2R_dirReg,@function
fft_rtc_back_len968_factors_2_2_2_11_11_wgs_176_tpt_88_sp_ip_CI_unitstride_sbrr_C2R_dirReg: ; @fft_rtc_back_len968_factors_2_2_2_11_11_wgs_176_tpt_88_sp_ip_CI_unitstride_sbrr_C2R_dirReg
; %bb.0:
	s_load_dwordx2 s[2:3], s[4:5], 0x50
	s_load_dwordx4 s[8:11], s[4:5], 0x0
	s_load_dwordx2 s[12:13], s[4:5], 0x18
	v_mul_u32_u24_e32 v1, 0x2e9, v0
	v_lshrrev_b32_e32 v9, 16, v1
	v_mov_b32_e32 v3, 0
	s_waitcnt lgkmcnt(0)
	v_cmp_lt_u64_e64 s[0:1], s[10:11], 2
	v_mov_b32_e32 v1, 0
	v_lshl_add_u32 v5, s6, 1, v9
	v_mov_b32_e32 v6, v3
	s_and_b64 vcc, exec, s[0:1]
	v_mov_b32_e32 v2, 0
	s_cbranch_vccnz .LBB0_8
; %bb.1:
	s_load_dwordx2 s[0:1], s[4:5], 0x10
	s_add_u32 s6, s12, 8
	s_addc_u32 s7, s13, 0
	v_mov_b32_e32 v1, 0
	v_mov_b32_e32 v2, 0
	s_waitcnt lgkmcnt(0)
	s_add_u32 s14, s0, 8
	s_addc_u32 s15, s1, 0
	s_mov_b64 s[16:17], 1
.LBB0_2:                                ; =>This Inner Loop Header: Depth=1
	s_load_dwordx2 s[18:19], s[14:15], 0x0
                                        ; implicit-def: $vgpr7_vgpr8
	s_waitcnt lgkmcnt(0)
	v_or_b32_e32 v4, s19, v6
	v_cmp_ne_u64_e32 vcc, 0, v[3:4]
	s_and_saveexec_b64 s[0:1], vcc
	s_xor_b64 s[20:21], exec, s[0:1]
	s_cbranch_execz .LBB0_4
; %bb.3:                                ;   in Loop: Header=BB0_2 Depth=1
	v_cvt_f32_u32_e32 v4, s18
	v_cvt_f32_u32_e32 v7, s19
	s_sub_u32 s0, 0, s18
	s_subb_u32 s1, 0, s19
	v_mac_f32_e32 v4, 0x4f800000, v7
	v_rcp_f32_e32 v4, v4
	v_mul_f32_e32 v4, 0x5f7ffffc, v4
	v_mul_f32_e32 v7, 0x2f800000, v4
	v_trunc_f32_e32 v7, v7
	v_mac_f32_e32 v4, 0xcf800000, v7
	v_cvt_u32_f32_e32 v7, v7
	v_cvt_u32_f32_e32 v4, v4
	v_mul_lo_u32 v8, s0, v7
	v_mul_hi_u32 v10, s0, v4
	v_mul_lo_u32 v12, s1, v4
	v_mul_lo_u32 v11, s0, v4
	v_add_u32_e32 v8, v10, v8
	v_add_u32_e32 v8, v8, v12
	v_mul_hi_u32 v10, v4, v11
	v_mul_lo_u32 v12, v4, v8
	v_mul_hi_u32 v14, v4, v8
	v_mul_hi_u32 v13, v7, v11
	v_mul_lo_u32 v11, v7, v11
	v_mul_hi_u32 v15, v7, v8
	v_add_co_u32_e32 v10, vcc, v10, v12
	v_addc_co_u32_e32 v12, vcc, 0, v14, vcc
	v_mul_lo_u32 v8, v7, v8
	v_add_co_u32_e32 v10, vcc, v10, v11
	v_addc_co_u32_e32 v10, vcc, v12, v13, vcc
	v_addc_co_u32_e32 v11, vcc, 0, v15, vcc
	v_add_co_u32_e32 v8, vcc, v10, v8
	v_addc_co_u32_e32 v10, vcc, 0, v11, vcc
	v_add_co_u32_e32 v4, vcc, v4, v8
	v_addc_co_u32_e32 v7, vcc, v7, v10, vcc
	v_mul_lo_u32 v8, s0, v7
	v_mul_hi_u32 v10, s0, v4
	v_mul_lo_u32 v11, s1, v4
	v_mul_lo_u32 v12, s0, v4
	v_add_u32_e32 v8, v10, v8
	v_add_u32_e32 v8, v8, v11
	v_mul_lo_u32 v13, v4, v8
	v_mul_hi_u32 v14, v4, v12
	v_mul_hi_u32 v15, v4, v8
	;; [unrolled: 1-line block ×3, first 2 shown]
	v_mul_lo_u32 v12, v7, v12
	v_mul_hi_u32 v10, v7, v8
	v_add_co_u32_e32 v13, vcc, v14, v13
	v_addc_co_u32_e32 v14, vcc, 0, v15, vcc
	v_mul_lo_u32 v8, v7, v8
	v_add_co_u32_e32 v12, vcc, v13, v12
	v_addc_co_u32_e32 v11, vcc, v14, v11, vcc
	v_addc_co_u32_e32 v10, vcc, 0, v10, vcc
	v_add_co_u32_e32 v8, vcc, v11, v8
	v_addc_co_u32_e32 v10, vcc, 0, v10, vcc
	v_add_co_u32_e32 v4, vcc, v4, v8
	v_addc_co_u32_e32 v10, vcc, v7, v10, vcc
	v_mad_u64_u32 v[7:8], s[0:1], v5, v10, 0
	v_mul_hi_u32 v11, v5, v4
	v_add_co_u32_e32 v12, vcc, v11, v7
	v_addc_co_u32_e32 v13, vcc, 0, v8, vcc
	v_mad_u64_u32 v[7:8], s[0:1], v6, v4, 0
	v_mad_u64_u32 v[10:11], s[0:1], v6, v10, 0
	v_add_co_u32_e32 v4, vcc, v12, v7
	v_addc_co_u32_e32 v4, vcc, v13, v8, vcc
	v_addc_co_u32_e32 v7, vcc, 0, v11, vcc
	v_add_co_u32_e32 v4, vcc, v4, v10
	v_addc_co_u32_e32 v10, vcc, 0, v7, vcc
	v_mul_lo_u32 v11, s19, v4
	v_mul_lo_u32 v12, s18, v10
	v_mad_u64_u32 v[7:8], s[0:1], s18, v4, 0
	v_add3_u32 v8, v8, v12, v11
	v_sub_u32_e32 v11, v6, v8
	v_mov_b32_e32 v12, s19
	v_sub_co_u32_e32 v7, vcc, v5, v7
	v_subb_co_u32_e64 v11, s[0:1], v11, v12, vcc
	v_subrev_co_u32_e64 v12, s[0:1], s18, v7
	v_subbrev_co_u32_e64 v11, s[0:1], 0, v11, s[0:1]
	v_cmp_le_u32_e64 s[0:1], s19, v11
	v_cndmask_b32_e64 v13, 0, -1, s[0:1]
	v_cmp_le_u32_e64 s[0:1], s18, v12
	v_cndmask_b32_e64 v12, 0, -1, s[0:1]
	v_cmp_eq_u32_e64 s[0:1], s19, v11
	v_cndmask_b32_e64 v11, v13, v12, s[0:1]
	v_add_co_u32_e64 v12, s[0:1], 2, v4
	v_addc_co_u32_e64 v13, s[0:1], 0, v10, s[0:1]
	v_add_co_u32_e64 v14, s[0:1], 1, v4
	v_addc_co_u32_e64 v15, s[0:1], 0, v10, s[0:1]
	v_subb_co_u32_e32 v8, vcc, v6, v8, vcc
	v_cmp_ne_u32_e64 s[0:1], 0, v11
	v_cmp_le_u32_e32 vcc, s19, v8
	v_cndmask_b32_e64 v11, v15, v13, s[0:1]
	v_cndmask_b32_e64 v13, 0, -1, vcc
	v_cmp_le_u32_e32 vcc, s18, v7
	v_cndmask_b32_e64 v7, 0, -1, vcc
	v_cmp_eq_u32_e32 vcc, s19, v8
	v_cndmask_b32_e32 v7, v13, v7, vcc
	v_cmp_ne_u32_e32 vcc, 0, v7
	v_cndmask_b32_e64 v7, v14, v12, s[0:1]
	v_cndmask_b32_e32 v8, v10, v11, vcc
	v_cndmask_b32_e32 v7, v4, v7, vcc
.LBB0_4:                                ;   in Loop: Header=BB0_2 Depth=1
	s_andn2_saveexec_b64 s[0:1], s[20:21]
	s_cbranch_execz .LBB0_6
; %bb.5:                                ;   in Loop: Header=BB0_2 Depth=1
	v_cvt_f32_u32_e32 v4, s18
	s_sub_i32 s20, 0, s18
	v_rcp_iflag_f32_e32 v4, v4
	v_mul_f32_e32 v4, 0x4f7ffffe, v4
	v_cvt_u32_f32_e32 v4, v4
	v_mul_lo_u32 v7, s20, v4
	v_mul_hi_u32 v7, v4, v7
	v_add_u32_e32 v4, v4, v7
	v_mul_hi_u32 v4, v5, v4
	v_mul_lo_u32 v7, v4, s18
	v_add_u32_e32 v8, 1, v4
	v_sub_u32_e32 v7, v5, v7
	v_subrev_u32_e32 v10, s18, v7
	v_cmp_le_u32_e32 vcc, s18, v7
	v_cndmask_b32_e32 v7, v7, v10, vcc
	v_cndmask_b32_e32 v4, v4, v8, vcc
	v_add_u32_e32 v8, 1, v4
	v_cmp_le_u32_e32 vcc, s18, v7
	v_cndmask_b32_e32 v7, v4, v8, vcc
	v_mov_b32_e32 v8, v3
.LBB0_6:                                ;   in Loop: Header=BB0_2 Depth=1
	s_or_b64 exec, exec, s[0:1]
	v_mul_lo_u32 v4, v8, s18
	v_mul_lo_u32 v12, v7, s19
	v_mad_u64_u32 v[10:11], s[0:1], v7, s18, 0
	s_load_dwordx2 s[0:1], s[6:7], 0x0
	s_add_u32 s16, s16, 1
	v_add3_u32 v4, v11, v12, v4
	v_sub_co_u32_e32 v5, vcc, v5, v10
	v_subb_co_u32_e32 v4, vcc, v6, v4, vcc
	s_waitcnt lgkmcnt(0)
	v_mul_lo_u32 v4, s0, v4
	v_mul_lo_u32 v6, s1, v5
	v_mad_u64_u32 v[1:2], s[0:1], s0, v5, v[1:2]
	s_addc_u32 s17, s17, 0
	s_add_u32 s6, s6, 8
	v_add3_u32 v2, v6, v2, v4
	v_mov_b32_e32 v4, s10
	v_mov_b32_e32 v5, s11
	s_addc_u32 s7, s7, 0
	v_cmp_ge_u64_e32 vcc, s[16:17], v[4:5]
	s_add_u32 s14, s14, 8
	s_addc_u32 s15, s15, 0
	s_cbranch_vccnz .LBB0_9
; %bb.7:                                ;   in Loop: Header=BB0_2 Depth=1
	v_mov_b32_e32 v5, v7
	v_mov_b32_e32 v6, v8
	s_branch .LBB0_2
.LBB0_8:
	v_mov_b32_e32 v8, v6
	v_mov_b32_e32 v7, v5
.LBB0_9:
	s_lshl_b64 s[0:1], s[10:11], 3
	s_add_u32 s0, s12, s0
	s_addc_u32 s1, s13, s1
	s_load_dwordx2 s[6:7], s[0:1], 0x0
	s_load_dwordx2 s[10:11], s[4:5], 0x20
	v_and_b32_e32 v5, 1, v9
	v_mov_b32_e32 v6, 0x3c9
	v_cmp_eq_u32_e32 vcc, 1, v5
	s_waitcnt lgkmcnt(0)
	v_mul_lo_u32 v3, s6, v8
	v_mul_lo_u32 v4, s7, v7
	v_mad_u64_u32 v[1:2], s[0:1], s6, v7, v[1:2]
	s_mov_b32 s0, 0x2e8ba2f
	v_add3_u32 v2, v4, v2, v3
	v_mul_hi_u32 v3, v0, s0
	v_cndmask_b32_e32 v4, 0, v6, vcc
	v_cmp_gt_u64_e64 s[0:1], s[10:11], v[7:8]
	v_lshlrev_b64 v[18:19], 3, v[1:2]
	v_mul_u32_u24_e32 v3, 0x58, v3
	v_sub_u32_e32 v16, v0, v3
	v_lshlrev_b32_e32 v32, 3, v4
	s_and_saveexec_b64 s[4:5], s[0:1]
	s_cbranch_execz .LBB0_13
; %bb.10:
	v_mov_b32_e32 v17, 0
	v_mov_b32_e32 v0, s3
	v_add_co_u32_e32 v1, vcc, s2, v18
	v_lshlrev_b64 v[2:3], 3, v[16:17]
	v_addc_co_u32_e32 v0, vcc, v0, v19, vcc
	v_add_co_u32_e32 v2, vcc, v1, v2
	v_addc_co_u32_e32 v3, vcc, v0, v3, vcc
	s_movk_i32 s6, 0x1000
	v_add_co_u32_e32 v13, vcc, s6, v2
	global_load_dwordx2 v[5:6], v[2:3], off
	global_load_dwordx2 v[7:8], v[2:3], off offset:704
	global_load_dwordx2 v[9:10], v[2:3], off offset:1408
	;; [unrolled: 1-line block ×3, first 2 shown]
	v_addc_co_u32_e32 v14, vcc, 0, v3, vcc
	global_load_dwordx2 v[20:21], v[2:3], off offset:2816
	global_load_dwordx2 v[22:23], v[2:3], off offset:3520
	;; [unrolled: 1-line block ×7, first 2 shown]
	v_lshlrev_b32_e32 v2, 3, v16
	s_movk_i32 s6, 0x57
	v_add3_u32 v2, 0, v32, v2
	v_cmp_eq_u32_e32 vcc, s6, v16
	v_add_u32_e32 v3, 0x400, v2
	v_add_u32_e32 v13, 0x800, v2
	;; [unrolled: 1-line block ×4, first 2 shown]
	s_waitcnt vmcnt(9)
	ds_write2_b64 v2, v[5:6], v[7:8] offset1:88
	s_waitcnt vmcnt(7)
	ds_write2_b64 v3, v[9:10], v[11:12] offset0:48 offset1:136
	s_waitcnt vmcnt(5)
	ds_write2_b64 v13, v[20:21], v[22:23] offset0:96 offset1:184
	;; [unrolled: 2-line block ×4, first 2 shown]
	s_waitcnt vmcnt(0)
	ds_write_b64 v2, v[33:34] offset:7040
	s_and_saveexec_b64 s[6:7], vcc
	s_cbranch_execz .LBB0_12
; %bb.11:
	v_add_co_u32_e32 v5, vcc, 0x1000, v1
	v_addc_co_u32_e32 v6, vcc, 0, v0, vcc
	global_load_dwordx2 v[0:1], v[5:6], off offset:3648
	v_mov_b32_e32 v16, 0x57
	s_waitcnt vmcnt(0)
	ds_write_b64 v2, v[0:1] offset:7048
.LBB0_12:
	s_or_b64 exec, exec, s[6:7]
.LBB0_13:
	s_or_b64 exec, exec, s[4:5]
	v_lshl_add_u32 v30, v4, 3, 0
	v_lshlrev_b32_e32 v5, 3, v16
	v_add_u32_e32 v31, v30, v5
	s_waitcnt lgkmcnt(0)
	s_barrier
	v_sub_u32_e32 v6, v30, v5
	ds_read_b32 v7, v31
	ds_read_b32 v8, v6 offset:7744
	s_add_u32 s6, s8, 0x1e30
	s_addc_u32 s7, s9, 0
	v_cmp_ne_u32_e32 vcc, 0, v16
                                        ; implicit-def: $vgpr0_vgpr1
	s_waitcnt lgkmcnt(0)
	v_add_f32_e32 v2, v8, v7
	v_sub_f32_e32 v3, v7, v8
	s_and_saveexec_b64 s[4:5], vcc
	s_xor_b64 s[4:5], exec, s[4:5]
	s_cbranch_execz .LBB0_15
; %bb.14:
	v_mov_b32_e32 v17, 0
	v_lshlrev_b64 v[0:1], 3, v[16:17]
	v_mov_b32_e32 v2, s7
	v_add_co_u32_e32 v0, vcc, s6, v0
	v_addc_co_u32_e32 v1, vcc, v2, v1, vcc
	global_load_dwordx2 v[0:1], v[0:1], off
	ds_read_b32 v2, v6 offset:7748
	ds_read_b32 v3, v31 offset:4
	v_add_f32_e32 v9, v8, v7
	v_sub_f32_e32 v10, v7, v8
	s_waitcnt lgkmcnt(0)
	v_add_f32_e32 v11, v2, v3
	v_sub_f32_e32 v2, v3, v2
	s_waitcnt vmcnt(0)
	v_fma_f32 v12, v10, v1, v9
	v_fma_f32 v3, v11, v1, v2
	v_fma_f32 v7, -v10, v1, v9
	v_fma_f32 v8, v11, v1, -v2
	v_fma_f32 v2, -v0, v11, v12
	v_fmac_f32_e32 v3, v10, v0
	v_fmac_f32_e32 v7, v0, v11
	;; [unrolled: 1-line block ×3, first 2 shown]
	v_mov_b32_e32 v0, v16
	ds_write_b64 v6, v[7:8] offset:7744
	v_mov_b32_e32 v1, v17
.LBB0_15:
	s_andn2_saveexec_b64 s[4:5], s[4:5]
	s_cbranch_execz .LBB0_17
; %bb.16:
	ds_read_b64 v[0:1], v30 offset:3872
	s_waitcnt lgkmcnt(0)
	v_add_f32_e32 v7, v0, v0
	v_mul_f32_e32 v8, -2.0, v1
	v_mov_b32_e32 v0, 0
	v_mov_b32_e32 v1, 0
	ds_write_b64 v30, v[7:8] offset:3872
.LBB0_17:
	s_or_b64 exec, exec, s[4:5]
	v_lshlrev_b64 v[0:1], 3, v[0:1]
	v_mov_b32_e32 v7, s7
	v_add_co_u32_e32 v0, vcc, s6, v0
	v_addc_co_u32_e32 v1, vcc, v7, v1, vcc
	global_load_dwordx2 v[7:8], v[0:1], off offset:704
	global_load_dwordx2 v[9:10], v[0:1], off offset:1408
	;; [unrolled: 1-line block ×4, first 2 shown]
	ds_write_b64 v31, v[2:3]
	ds_read_b64 v[2:3], v31 offset:704
	ds_read_b64 v[20:21], v6 offset:7040
	v_cmp_gt_u32_e32 vcc, 44, v16
	s_waitcnt lgkmcnt(0)
	v_add_f32_e32 v15, v2, v20
	v_add_f32_e32 v17, v21, v3
	v_sub_f32_e32 v22, v2, v20
	v_sub_f32_e32 v20, v3, v21
	s_waitcnt vmcnt(3)
	v_fma_f32 v23, v22, v8, v15
	v_fma_f32 v21, v17, v8, v20
	v_fma_f32 v2, -v22, v8, v15
	v_fma_f32 v3, v17, v8, -v20
	v_fma_f32 v20, -v7, v17, v23
	v_fmac_f32_e32 v21, v22, v7
	v_fmac_f32_e32 v2, v7, v17
	v_fmac_f32_e32 v3, v22, v7
	ds_write_b64 v31, v[20:21] offset:704
	ds_write_b64 v6, v[2:3] offset:7040
	ds_read_b64 v[2:3], v31 offset:1408
	ds_read_b64 v[7:8], v6 offset:6336
	s_waitcnt lgkmcnt(0)
	v_add_f32_e32 v15, v2, v7
	v_add_f32_e32 v17, v8, v3
	v_sub_f32_e32 v20, v2, v7
	v_sub_f32_e32 v2, v3, v8
	s_waitcnt vmcnt(2)
	v_fma_f32 v21, v20, v10, v15
	v_fma_f32 v3, v17, v10, v2
	v_fma_f32 v7, -v20, v10, v15
	v_fma_f32 v8, v17, v10, -v2
	v_fma_f32 v2, -v9, v17, v21
	v_fmac_f32_e32 v3, v20, v9
	v_fmac_f32_e32 v7, v9, v17
	v_fmac_f32_e32 v8, v20, v9
	ds_write_b64 v31, v[2:3] offset:1408
	ds_write_b64 v6, v[7:8] offset:6336
	ds_read_b64 v[2:3], v31 offset:2112
	ds_read_b64 v[7:8], v6 offset:5632
	;; [unrolled: 18-line block ×3, first 2 shown]
	s_waitcnt lgkmcnt(0)
	v_add_f32_e32 v9, v2, v7
	v_add_f32_e32 v10, v8, v3
	v_sub_f32_e32 v11, v2, v7
	v_sub_f32_e32 v2, v3, v8
	s_waitcnt vmcnt(0)
	v_fma_f32 v12, v11, v14, v9
	v_fma_f32 v3, v10, v14, v2
	v_fma_f32 v7, -v11, v14, v9
	v_fma_f32 v8, v10, v14, -v2
	v_fma_f32 v2, -v13, v10, v12
	v_fmac_f32_e32 v3, v11, v13
	v_fmac_f32_e32 v7, v13, v10
	;; [unrolled: 1-line block ×3, first 2 shown]
	ds_write_b64 v31, v[2:3] offset:2816
	ds_write_b64 v6, v[7:8] offset:4928
	s_and_saveexec_b64 s[4:5], vcc
	s_cbranch_execz .LBB0_19
; %bb.18:
	global_load_dwordx2 v[0:1], v[0:1], off offset:3520
	ds_read_b64 v[2:3], v31 offset:3520
	ds_read_b64 v[7:8], v6 offset:4224
	s_waitcnt lgkmcnt(0)
	v_add_f32_e32 v9, v2, v7
	v_add_f32_e32 v10, v8, v3
	v_sub_f32_e32 v11, v2, v7
	v_sub_f32_e32 v3, v3, v8
	s_waitcnt vmcnt(0)
	v_fma_f32 v12, v11, v1, v9
	v_fma_f32 v2, v10, v1, v3
	v_fma_f32 v7, -v11, v1, v9
	v_fma_f32 v8, v10, v1, -v3
	v_fma_f32 v1, -v0, v10, v12
	v_fmac_f32_e32 v2, v11, v0
	v_fmac_f32_e32 v7, v0, v10
	;; [unrolled: 1-line block ×3, first 2 shown]
	ds_write_b64 v31, v[1:2] offset:3520
	ds_write_b64 v6, v[7:8] offset:4224
.LBB0_19:
	s_or_b64 exec, exec, s[4:5]
	v_add_u32_e32 v15, 0, v5
	v_add_u32_e32 v17, v15, v32
	;; [unrolled: 1-line block ×3, first 2 shown]
	s_waitcnt lgkmcnt(0)
	s_barrier
	s_barrier
	ds_read2_b64 v[7:10], v2 offset0:184 offset1:228
	ds_read_b64 v[0:1], v31
	v_add_u32_e32 v6, 0x1000, v17
	ds_read2_b64 v[11:14], v2 offset0:8 offset1:96
	ds_read_b64 v[2:3], v17 offset:7392
	v_add_u32_e32 v38, 0x160, v16
	s_waitcnt lgkmcnt(2)
	v_sub_f32_e32 v9, v0, v9
	v_fma_f32 v28, v0, 2.0, -v9
	v_add_u32_e32 v0, 0x1400, v17
	ds_read2_b64 v[20:23], v0 offset0:108 offset1:196
	ds_read2_b64 v[24:27], v17 offset0:88 offset1:176
	;; [unrolled: 1-line block ×3, first 2 shown]
	v_sub_f32_e32 v10, v1, v10
	v_add_u32_e32 v0, v15, v5
	v_fma_f32 v29, v1, 2.0, -v10
	v_add_u32_e32 v1, v0, v32
	s_waitcnt lgkmcnt(0)
	s_barrier
	ds_write2_b64 v1, v[28:29], v[9:10] offset1:1
	v_add_u32_e32 v29, 0x58, v16
	v_sub_f32_e32 v9, v24, v33
	v_sub_f32_e32 v10, v25, v34
	v_lshlrev_b32_e32 v1, 4, v29
	v_fma_f32 v24, v24, 2.0, -v9
	v_fma_f32 v25, v25, 2.0, -v10
	v_add3_u32 v1, 0, v1, v32
	v_add_u32_e32 v34, 0xb0, v16
	ds_write2_b64 v1, v[24:25], v[9:10] offset1:1
	v_sub_f32_e32 v9, v26, v35
	v_sub_f32_e32 v10, v27, v36
	v_lshlrev_b32_e32 v1, 4, v34
	v_fma_f32 v24, v26, 2.0, -v9
	v_fma_f32 v25, v27, 2.0, -v10
	v_add3_u32 v1, 0, v1, v32
	v_add_u32_e32 v35, 0x108, v16
	ds_write2_b64 v1, v[24:25], v[9:10] offset1:1
	v_sub_f32_e32 v9, v11, v20
	v_sub_f32_e32 v10, v12, v21
	v_lshlrev_b32_e32 v1, 4, v35
	v_fma_f32 v11, v11, 2.0, -v9
	v_fma_f32 v12, v12, 2.0, -v10
	v_add3_u32 v1, 0, v1, v32
	ds_write2_b64 v1, v[11:12], v[9:10] offset1:1
	v_sub_f32_e32 v9, v13, v22
	v_sub_f32_e32 v10, v14, v23
	;; [unrolled: 1-line block ×4, first 2 shown]
	v_lshlrev_b32_e32 v1, 4, v38
	v_fma_f32 v11, v13, 2.0, -v9
	v_fma_f32 v12, v14, 2.0, -v10
	v_fma_f32 v20, v7, 2.0, -v22
	v_fma_f32 v21, v8, 2.0, -v23
	v_add_u32_e32 v28, 0x1b8, v16
	v_add3_u32 v1, 0, v1, v32
	ds_write2_b64 v1, v[11:12], v[9:10] offset1:1
	s_and_saveexec_b64 s[4:5], vcc
	s_cbranch_execz .LBB0_21
; %bb.20:
	v_lshlrev_b32_e32 v1, 4, v28
	v_add3_u32 v1, 0, v1, v32
	ds_write2_b64 v1, v[20:21], v[22:23] offset1:1
.LBB0_21:
	s_or_b64 exec, exec, s[4:5]
	v_sub_u32_e32 v0, v0, v5
	v_lshl_add_u32 v33, v4, 3, v0
	v_add_u32_e32 v1, 0xc00, v17
	v_add_u32_e32 v4, 0x800, v33
	s_waitcnt lgkmcnt(0)
	s_barrier
	ds_read2_b64 v[8:11], v1 offset0:100 offset1:188
	ds_read2_b64 v[0:3], v33 offset0:88 offset1:176
	;; [unrolled: 1-line block ×4, first 2 shown]
	ds_read_b64 v[24:25], v31
	ds_read_b64 v[26:27], v17 offset:6688
	v_lshlrev_b32_e32 v36, 1, v29
	v_lshlrev_b32_e32 v37, 1, v34
	;; [unrolled: 1-line block ×4, first 2 shown]
	s_and_saveexec_b64 s[4:5], vcc
	s_cbranch_execz .LBB0_23
; %bb.22:
	ds_read_b64 v[20:21], v33 offset:3520
	ds_read_b64 v[22:23], v17 offset:7392
.LBB0_23:
	s_or_b64 exec, exec, s[4:5]
	v_and_b32_e32 v29, 1, v16
	v_lshlrev_b32_e32 v38, 3, v29
	global_load_dwordx2 v[39:40], v38, s[8:9]
	s_movk_i32 s4, 0xfc
	v_lshlrev_b32_e32 v38, 1, v16
	s_movk_i32 s5, 0x1fc
	s_movk_i32 s6, 0x3fc
	v_and_or_b32 v41, v38, s4, v29
	v_and_or_b32 v42, v36, s5, v29
	;; [unrolled: 1-line block ×5, first 2 shown]
	v_lshlrev_b32_e32 v41, 3, v41
	v_lshlrev_b32_e32 v42, 3, v42
	;; [unrolled: 1-line block ×5, first 2 shown]
	v_add3_u32 v41, 0, v41, v32
	s_waitcnt vmcnt(0) lgkmcnt(0)
	s_barrier
	v_add3_u32 v42, 0, v42, v32
	v_add3_u32 v43, 0, v43, v32
	;; [unrolled: 1-line block ×4, first 2 shown]
	v_mul_f32_e32 v46, v40, v9
	v_mul_f32_e32 v47, v40, v8
	;; [unrolled: 1-line block ×12, first 2 shown]
	v_fmac_f32_e32 v46, v39, v8
	v_fma_f32 v9, v39, v9, -v47
	v_fmac_f32_e32 v56, v22, v39
	v_fma_f32 v23, v23, v39, -v40
	;; [unrolled: 2-line block ×6, first 2 shown]
	v_sub_f32_e32 v8, v24, v46
	v_sub_f32_e32 v9, v25, v9
	v_sub_f32_e32 v22, v20, v56
	v_sub_f32_e32 v23, v21, v23
	v_sub_f32_e32 v10, v0, v48
	v_sub_f32_e32 v11, v1, v11
	v_sub_f32_e32 v12, v2, v50
	v_sub_f32_e32 v13, v3, v13
	v_sub_f32_e32 v14, v4, v52
	v_sub_f32_e32 v15, v5, v15
	v_sub_f32_e32 v26, v6, v54
	v_sub_f32_e32 v27, v7, v27
	v_fma_f32 v24, v24, 2.0, -v8
	v_fma_f32 v25, v25, 2.0, -v9
	;; [unrolled: 1-line block ×4, first 2 shown]
	v_lshlrev_b32_e32 v39, 1, v28
	v_fma_f32 v0, v0, 2.0, -v10
	v_fma_f32 v1, v1, 2.0, -v11
	;; [unrolled: 1-line block ×8, first 2 shown]
	ds_write2_b64 v41, v[24:25], v[8:9] offset1:2
	ds_write2_b64 v42, v[0:1], v[10:11] offset1:2
	;; [unrolled: 1-line block ×5, first 2 shown]
	s_and_saveexec_b64 s[4:5], vcc
	s_cbranch_execz .LBB0_25
; %bb.24:
	v_and_or_b32 v0, v39, s6, v29
	v_lshlrev_b32_e32 v0, 3, v0
	v_add3_u32 v0, 0, v0, v32
	ds_write2_b64 v0, v[20:21], v[22:23] offset1:2
.LBB0_25:
	s_or_b64 exec, exec, s[4:5]
	v_add_u32_e32 v0, 0xc00, v17
	v_add_u32_e32 v4, 0x1000, v17
	s_waitcnt lgkmcnt(0)
	s_barrier
	ds_read2_b64 v[8:11], v0 offset0:100 offset1:188
	ds_read2_b64 v[0:3], v33 offset0:88 offset1:176
	;; [unrolled: 1-line block ×3, first 2 shown]
	v_add_u32_e32 v4, 0x800, v33
	ds_read2_b64 v[4:7], v4 offset0:8 offset1:96
	ds_read_b64 v[24:25], v31
	ds_read_b64 v[28:29], v17 offset:6688
	s_and_saveexec_b64 s[4:5], vcc
	s_cbranch_execz .LBB0_27
; %bb.26:
	ds_read_b64 v[20:21], v17 offset:3520
	ds_read_b64 v[22:23], v17 offset:7392
.LBB0_27:
	s_or_b64 exec, exec, s[4:5]
	v_and_b32_e32 v40, 3, v16
	v_lshlrev_b32_e32 v26, 3, v40
	global_load_dwordx2 v[26:27], v26, s[8:9] offset:16
	s_movk_i32 s4, 0xf8
	s_movk_i32 s5, 0x1f8
	;; [unrolled: 1-line block ×3, first 2 shown]
	v_and_or_b32 v38, v38, s4, v40
	v_and_or_b32 v36, v36, s5, v40
	;; [unrolled: 1-line block ×5, first 2 shown]
	v_lshlrev_b32_e32 v38, 3, v38
	v_lshlrev_b32_e32 v36, 3, v36
	;; [unrolled: 1-line block ×5, first 2 shown]
	v_add3_u32 v38, 0, v38, v32
	s_waitcnt vmcnt(0) lgkmcnt(0)
	s_barrier
	v_add3_u32 v36, 0, v36, v32
	v_add3_u32 v37, 0, v37, v32
	;; [unrolled: 1-line block ×4, first 2 shown]
	v_mul_f32_e32 v41, v27, v9
	v_mul_f32_e32 v42, v27, v8
	;; [unrolled: 1-line block ×10, first 2 shown]
	v_fmac_f32_e32 v41, v26, v8
	v_fma_f32 v9, v26, v9, -v42
	v_fmac_f32_e32 v43, v26, v10
	v_fma_f32 v11, v26, v11, -v44
	;; [unrolled: 2-line block ×5, first 2 shown]
	v_sub_f32_e32 v8, v24, v41
	v_sub_f32_e32 v9, v25, v9
	;; [unrolled: 1-line block ×10, first 2 shown]
	v_fma_f32 v24, v24, 2.0, -v8
	v_fma_f32 v25, v25, 2.0, -v9
	;; [unrolled: 1-line block ×10, first 2 shown]
	ds_write2_b64 v38, v[24:25], v[8:9] offset1:4
	ds_write2_b64 v36, v[0:1], v[10:11] offset1:4
	;; [unrolled: 1-line block ×5, first 2 shown]
	s_and_saveexec_b64 s[4:5], vcc
	s_cbranch_execz .LBB0_29
; %bb.28:
	v_mul_f32_e32 v0, v22, v27
	v_fma_f32 v0, v23, v26, -v0
	v_sub_f32_e32 v1, v21, v0
	v_mul_f32_e32 v0, v23, v27
	v_fmac_f32_e32 v0, v22, v26
	v_and_or_b32 v4, v39, s6, v40
	v_sub_f32_e32 v0, v20, v0
	v_lshlrev_b32_e32 v4, 3, v4
	v_fma_f32 v3, v21, 2.0, -v1
	v_fma_f32 v2, v20, 2.0, -v0
	v_add3_u32 v4, 0, v4, v32
	ds_write2_b64 v4, v[2:3], v[0:1] offset1:4
.LBB0_29:
	s_or_b64 exec, exec, s[4:5]
	v_and_b32_e32 v4, 7, v16
	v_mul_u32_u24_e32 v0, 10, v4
	v_lshlrev_b32_e32 v0, 3, v0
	s_waitcnt lgkmcnt(0)
	s_barrier
	global_load_dwordx4 v[7:10], v0, s[8:9] offset:48
	global_load_dwordx4 v[11:14], v0, s[8:9] offset:64
	;; [unrolled: 1-line block ×5, first 2 shown]
	ds_read2_b64 v[38:41], v33 offset0:88 offset1:176
	v_add_u32_e32 v6, 0x800, v33
	v_add_u32_e32 v5, 0xc00, v17
	;; [unrolled: 1-line block ×4, first 2 shown]
	ds_read_b64 v[0:1], v17 offset:7040
	ds_read_b64 v[28:29], v31
	ds_read2_b64 v[42:45], v6 offset0:8 offset1:96
	ds_read2_b32 v[54:55], v5 offset0:112 offset1:113
	ds_read2_b64 v[46:49], v3 offset0:16 offset1:104
	ds_read2_b64 v[50:53], v2 offset0:64 offset1:152
	s_mov_b32 s5, 0x3ed4b147
	s_mov_b32 s4, 0x3f575c64
	;; [unrolled: 1-line block ×5, first 2 shown]
	s_waitcnt vmcnt(0) lgkmcnt(0)
	s_barrier
	v_mul_f32_e32 v15, v8, v39
	v_mul_f32_e32 v8, v8, v38
	;; [unrolled: 1-line block ×7, first 2 shown]
	v_fmac_f32_e32 v15, v7, v38
	v_fma_f32 v7, v7, v39, -v8
	v_fmac_f32_e32 v56, v9, v40
	v_fma_f32 v8, v9, v41, -v10
	v_mul_f32_e32 v9, v14, v44
	v_mul_f32_e32 v10, v55, v21
	;; [unrolled: 1-line block ×8, first 2 shown]
	v_fmac_f32_e32 v57, v11, v42
	v_fma_f32 v11, v11, v43, -v12
	v_fmac_f32_e32 v58, v13, v44
	v_fma_f32 v9, v13, v45, -v9
	v_mul_f32_e32 v12, v50, v27
	v_mul_f32_e32 v13, v53, v35
	;; [unrolled: 1-line block ×4, first 2 shown]
	v_fmac_f32_e32 v10, v20, v54
	v_fma_f32 v14, v55, v20, -v14
	v_fmac_f32_e32 v21, v46, v22
	v_fma_f32 v20, v47, v22, -v23
	;; [unrolled: 2-line block ×3, first 2 shown]
	v_add_f32_e32 v24, v7, v29
	v_mul_f32_e32 v37, v0, v37
	v_fmac_f32_e32 v35, v0, v36
	v_add_f32_e32 v0, v15, v28
	v_add_f32_e32 v24, v24, v8
	;; [unrolled: 1-line block ×10, first 2 shown]
	v_fma_f32 v12, v51, v26, -v12
	v_fma_f32 v1, v1, v36, -v37
	v_add_f32_e32 v0, v0, v21
	v_add_f32_e32 v24, v24, v22
	v_fmac_f32_e32 v39, v50, v26
	v_fma_f32 v23, v53, v34, -v27
	v_add_f32_e32 v26, v7, v1
	v_sub_f32_e32 v7, v7, v1
	v_add_f32_e32 v0, v0, v38
	v_add_f32_e32 v24, v24, v12
	v_fmac_f32_e32 v13, v52, v34
	v_add_f32_e32 v25, v15, v35
	v_mul_f32_e32 v34, 0xbf68dda4, v7
	v_add_f32_e32 v0, v0, v39
	v_add_f32_e32 v24, v24, v23
	v_mul_f32_e32 v27, 0xbf0a6770, v7
	v_mov_b32_e32 v37, v34
	v_add_f32_e32 v0, v0, v13
	v_add_f32_e32 v1, v24, v1
	v_fma_f32 v24, v25, s5, -v34
	v_mul_f32_e32 v34, 0xbf7d64f0, v7
	v_mul_f32_e32 v40, 0xbf4178ce, v7
	;; [unrolled: 1-line block ×3, first 2 shown]
	v_sub_f32_e32 v15, v15, v35
	v_mov_b32_e32 v36, v27
	v_add_f32_e32 v0, v0, v35
	v_mov_b32_e32 v35, v34
	v_mov_b32_e32 v41, v40
	;; [unrolled: 1-line block ×3, first 2 shown]
	v_fma_f32 v27, v25, s4, -v27
	v_fmac_f32_e32 v36, 0x3f575c64, v25
	v_fmac_f32_e32 v37, 0x3ed4b147, v25
	;; [unrolled: 1-line block ×3, first 2 shown]
	v_fma_f32 v34, v25, s6, -v34
	v_fmac_f32_e32 v41, 0xbf27a4f4, v25
	v_fma_f32 v40, v25, s7, -v40
	v_fmac_f32_e32 v42, 0xbf75a155, v25
	v_fma_f32 v7, v25, s10, -v7
	v_mul_f32_e32 v25, 0x3f575c64, v26
	v_mul_f32_e32 v44, 0x3ed4b147, v26
	;; [unrolled: 1-line block ×5, first 2 shown]
	v_mov_b32_e32 v43, v25
	v_mov_b32_e32 v45, v44
	;; [unrolled: 1-line block ×5, first 2 shown]
	v_fmac_f32_e32 v43, 0x3f0a6770, v15
	v_fmac_f32_e32 v25, 0xbf0a6770, v15
	;; [unrolled: 1-line block ×10, first 2 shown]
	v_add_f32_e32 v15, v36, v28
	v_add_f32_e32 v36, v43, v29
	;; [unrolled: 1-line block ×11, first 2 shown]
	v_sub_f32_e32 v29, v8, v23
	v_add_f32_e32 v52, v56, v13
	v_sub_f32_e32 v53, v56, v13
	v_mul_f32_e32 v13, 0xbf68dda4, v29
	v_add_f32_e32 v50, v7, v28
	v_mov_b32_e32 v7, v13
	v_add_f32_e32 v27, v27, v28
	v_add_f32_e32 v37, v37, v28
	;; [unrolled: 1-line block ×9, first 2 shown]
	v_fmac_f32_e32 v7, 0x3ed4b147, v52
	v_add_f32_e32 v7, v7, v15
	v_mul_f32_e32 v15, 0x3ed4b147, v28
	v_mov_b32_e32 v8, v15
	v_sub_f32_e32 v55, v11, v12
	v_fmac_f32_e32 v8, 0x3f68dda4, v53
	v_add_f32_e32 v54, v11, v12
	v_mul_f32_e32 v11, 0xbf7d64f0, v55
	v_add_f32_e32 v8, v8, v36
	v_add_f32_e32 v36, v57, v39
	v_mov_b32_e32 v12, v11
	v_add_f32_e32 v56, v58, v38
	v_sub_f32_e32 v38, v58, v38
	v_sub_f32_e32 v58, v9, v22
	;; [unrolled: 1-line block ×3, first 2 shown]
	v_fmac_f32_e32 v12, 0xbe11bafb, v36
	v_add_f32_e32 v57, v9, v22
	v_mul_f32_e32 v9, 0xbf4178ce, v58
	v_sub_f32_e32 v62, v14, v20
	v_add_f32_e32 v7, v12, v7
	v_mul_f32_e32 v12, 0xbe11bafb, v54
	v_mov_b32_e32 v22, v9
	v_add_f32_e32 v59, v10, v21
	v_sub_f32_e32 v60, v10, v21
	v_mul_f32_e32 v10, 0xbe903f40, v62
	v_mov_b32_e32 v23, v12
	v_fmac_f32_e32 v22, 0xbf27a4f4, v56
	v_add_f32_e32 v61, v14, v20
	v_mov_b32_e32 v14, v10
	v_fma_f32 v13, v52, s5, -v13
	v_fmac_f32_e32 v15, 0xbf68dda4, v53
	v_fmac_f32_e32 v23, 0x3f7d64f0, v39
	v_add_f32_e32 v7, v22, v7
	v_mul_f32_e32 v22, 0xbf27a4f4, v57
	v_fmac_f32_e32 v14, 0xbf75a155, v59
	v_add_f32_e32 v13, v13, v27
	v_add_f32_e32 v15, v15, v25
	v_fma_f32 v11, v36, s6, -v11
	v_fmac_f32_e32 v12, 0xbf7d64f0, v39
	v_add_f32_e32 v8, v23, v8
	v_mov_b32_e32 v23, v22
	v_add_f32_e32 v7, v14, v7
	v_mul_f32_e32 v14, 0xbf75a155, v61
	v_add_f32_e32 v11, v11, v13
	v_add_f32_e32 v12, v12, v15
	v_fma_f32 v9, v56, s7, -v9
	v_fmac_f32_e32 v22, 0xbf4178ce, v38
	v_fmac_f32_e32 v23, 0x3f4178ce, v38
	v_mov_b32_e32 v20, v14
	v_add_f32_e32 v9, v9, v11
	v_add_f32_e32 v11, v22, v12
	v_fma_f32 v10, v59, s10, -v10
	v_fmac_f32_e32 v14, 0xbe903f40, v60
	v_mul_f32_e32 v13, 0xbf4178ce, v29
	v_add_f32_e32 v8, v23, v8
	v_fmac_f32_e32 v20, 0x3e903f40, v60
	v_add_f32_e32 v9, v10, v9
	v_add_f32_e32 v10, v14, v11
	v_mov_b32_e32 v11, v13
	v_mul_f32_e32 v15, 0x3e903f40, v55
	v_add_f32_e32 v8, v20, v8
	v_fmac_f32_e32 v11, 0xbf27a4f4, v52
	v_mov_b32_e32 v20, v15
	v_add_f32_e32 v11, v11, v37
	v_mul_f32_e32 v14, 0xbf27a4f4, v28
	v_fmac_f32_e32 v20, 0xbf75a155, v36
	v_mov_b32_e32 v12, v14
	v_add_f32_e32 v11, v20, v11
	v_mul_f32_e32 v20, 0xbf75a155, v54
	v_fmac_f32_e32 v12, 0x3f4178ce, v53
	v_mov_b32_e32 v21, v20
	v_add_f32_e32 v12, v12, v43
	v_fmac_f32_e32 v21, 0xbe903f40, v39
	v_add_f32_e32 v12, v21, v12
	v_mul_f32_e32 v21, 0x3f7d64f0, v58
	v_mov_b32_e32 v22, v21
	v_fmac_f32_e32 v22, 0xbe11bafb, v56
	v_add_f32_e32 v11, v22, v11
	v_mul_f32_e32 v22, 0xbe11bafb, v57
	v_mov_b32_e32 v23, v22
	v_fma_f32 v13, v52, s7, -v13
	v_fmac_f32_e32 v23, 0xbf7d64f0, v38
	v_add_f32_e32 v13, v13, v24
	v_fma_f32 v15, v36, s10, -v15
	v_add_f32_e32 v12, v23, v12
	v_mul_f32_e32 v23, 0x3f0a6770, v62
	v_add_f32_e32 v13, v15, v13
	v_fma_f32 v15, v56, s6, -v21
	v_fmac_f32_e32 v14, 0xbf4178ce, v53
	v_add_f32_e32 v13, v15, v13
	v_fma_f32 v15, v59, s4, -v23
	v_add_f32_e32 v14, v14, v44
	v_fmac_f32_e32 v20, 0x3e903f40, v39
	v_add_f32_e32 v13, v15, v13
	v_mul_f32_e32 v15, 0x3e903f40, v29
	v_mov_b32_e32 v25, v23
	v_add_f32_e32 v14, v20, v14
	v_mov_b32_e32 v20, v15
	v_mul_f32_e32 v23, 0x3f68dda4, v55
	v_fmac_f32_e32 v25, 0x3f575c64, v59
	v_fmac_f32_e32 v22, 0x3f7d64f0, v38
	;; [unrolled: 1-line block ×3, first 2 shown]
	v_mov_b32_e32 v24, v23
	v_add_f32_e32 v11, v25, v11
	v_mul_f32_e32 v25, 0x3f575c64, v61
	v_add_f32_e32 v14, v22, v14
	v_add_f32_e32 v20, v20, v35
	v_mul_f32_e32 v22, 0xbf75a155, v28
	v_fmac_f32_e32 v24, 0x3ed4b147, v36
	v_mov_b32_e32 v26, v25
	v_fmac_f32_e32 v25, 0x3f0a6770, v60
	v_mov_b32_e32 v21, v22
	v_add_f32_e32 v20, v24, v20
	v_mul_f32_e32 v24, 0x3ed4b147, v54
	v_add_f32_e32 v14, v25, v14
	v_fmac_f32_e32 v21, 0xbe903f40, v53
	v_mov_b32_e32 v25, v24
	v_add_f32_e32 v21, v21, v45
	v_fmac_f32_e32 v25, 0xbf68dda4, v39
	v_fmac_f32_e32 v26, 0xbf0a6770, v60
	v_add_f32_e32 v21, v25, v21
	v_mul_f32_e32 v25, 0xbf0a6770, v58
	v_add_f32_e32 v12, v26, v12
	v_mov_b32_e32 v26, v25
	v_fmac_f32_e32 v26, 0x3f575c64, v56
	v_add_f32_e32 v20, v26, v20
	v_mul_f32_e32 v26, 0x3f575c64, v57
	v_mov_b32_e32 v27, v26
	v_fma_f32 v15, v52, s10, -v15
	v_fmac_f32_e32 v22, 0x3e903f40, v53
	v_fmac_f32_e32 v27, 0x3f0a6770, v38
	v_add_f32_e32 v15, v15, v34
	v_add_f32_e32 v22, v22, v46
	v_fma_f32 v23, v36, s5, -v23
	v_fmac_f32_e32 v24, 0x3f68dda4, v39
	v_add_f32_e32 v21, v27, v21
	v_mul_f32_e32 v27, 0xbf4178ce, v62
	v_add_f32_e32 v15, v23, v15
	v_add_f32_e32 v22, v24, v22
	v_fma_f32 v23, v56, s4, -v25
	v_fmac_f32_e32 v26, 0xbf0a6770, v38
	v_add_f32_e32 v15, v23, v15
	v_add_f32_e32 v23, v26, v22
	v_fma_f32 v22, v59, s7, -v27
	v_add_f32_e32 v22, v22, v15
	v_mul_f32_e32 v15, 0x3f7d64f0, v29
	v_mov_b32_e32 v35, v27
	v_mov_b32_e32 v24, v15
	v_mul_f32_e32 v27, 0xbf0a6770, v55
	v_fmac_f32_e32 v35, 0xbf27a4f4, v59
	v_fmac_f32_e32 v24, 0xbe11bafb, v52
	v_mov_b32_e32 v34, v27
	v_add_f32_e32 v20, v35, v20
	v_mul_f32_e32 v35, 0xbf27a4f4, v61
	v_add_f32_e32 v24, v24, v41
	v_mul_f32_e32 v26, 0xbe11bafb, v28
	v_fmac_f32_e32 v34, 0x3f575c64, v36
	v_mov_b32_e32 v37, v35
	v_fmac_f32_e32 v35, 0xbf4178ce, v60
	v_mov_b32_e32 v25, v26
	v_add_f32_e32 v24, v34, v24
	v_mul_f32_e32 v34, 0x3f575c64, v54
	v_add_f32_e32 v23, v35, v23
	v_fmac_f32_e32 v25, 0xbf7d64f0, v53
	v_mov_b32_e32 v35, v34
	v_add_f32_e32 v25, v25, v47
	v_fmac_f32_e32 v35, 0x3f0a6770, v39
	v_fmac_f32_e32 v37, 0x3f4178ce, v60
	v_add_f32_e32 v25, v35, v25
	v_mul_f32_e32 v35, 0xbe903f40, v58
	v_add_f32_e32 v21, v37, v21
	v_mov_b32_e32 v37, v35
	v_fmac_f32_e32 v37, 0xbf75a155, v56
	v_add_f32_e32 v24, v37, v24
	v_mul_f32_e32 v37, 0xbf75a155, v57
	v_mov_b32_e32 v41, v37
	v_fma_f32 v15, v52, s6, -v15
	v_fmac_f32_e32 v26, 0x3f7d64f0, v53
	v_fmac_f32_e32 v41, 0x3e903f40, v38
	v_add_f32_e32 v15, v15, v40
	v_add_f32_e32 v26, v26, v48
	v_fma_f32 v27, v36, s4, -v27
	v_fmac_f32_e32 v34, 0xbf0a6770, v39
	v_add_f32_e32 v25, v41, v25
	v_mul_f32_e32 v41, 0x3f68dda4, v62
	v_add_f32_e32 v15, v27, v15
	v_add_f32_e32 v26, v34, v26
	v_fma_f32 v27, v56, s10, -v35
	v_fmac_f32_e32 v37, 0xbe903f40, v38
	v_add_f32_e32 v15, v27, v15
	v_add_f32_e32 v27, v37, v26
	v_fma_f32 v26, v59, s5, -v41
	v_add_f32_e32 v26, v26, v15
	v_mul_f32_e32 v15, 0x3f0a6770, v29
	v_mov_b32_e32 v29, v15
	v_mul_f32_e32 v35, 0xbf4178ce, v55
	v_fmac_f32_e32 v29, 0x3f575c64, v52
	v_mov_b32_e32 v37, v35
	v_add_f32_e32 v29, v29, v42
	v_mul_f32_e32 v34, 0x3f575c64, v28
	v_fmac_f32_e32 v37, 0xbf27a4f4, v36
	v_mov_b32_e32 v28, v34
	v_add_f32_e32 v29, v37, v29
	;; [unrolled: 4-line block ×3, first 2 shown]
	v_fmac_f32_e32 v40, 0x3f4178ce, v39
	v_mov_b32_e32 v43, v41
	v_add_f32_e32 v28, v40, v28
	v_mul_f32_e32 v40, 0x3f68dda4, v58
	v_fmac_f32_e32 v43, 0x3ed4b147, v59
	v_mov_b32_e32 v41, v40
	v_add_f32_e32 v24, v43, v24
	v_mul_f32_e32 v43, 0x3ed4b147, v61
	v_fmac_f32_e32 v41, 0x3ed4b147, v56
	v_fma_f32 v15, v52, s4, -v15
	v_fmac_f32_e32 v34, 0x3f0a6770, v53
	v_mov_b32_e32 v44, v43
	v_fmac_f32_e32 v43, 0x3f68dda4, v60
	v_add_f32_e32 v29, v41, v29
	v_mul_f32_e32 v41, 0x3ed4b147, v57
	v_add_f32_e32 v15, v15, v50
	v_add_f32_e32 v34, v34, v51
	v_fma_f32 v35, v36, s7, -v35
	v_fmac_f32_e32 v37, 0xbf4178ce, v39
	v_add_f32_e32 v27, v43, v27
	v_mov_b32_e32 v42, v41
	v_mul_f32_e32 v43, 0xbf7d64f0, v62
	v_add_f32_e32 v15, v35, v15
	v_add_f32_e32 v34, v37, v34
	v_fma_f32 v35, v56, s5, -v40
	v_fmac_f32_e32 v41, 0x3f68dda4, v38
	v_add_f32_e32 v15, v35, v15
	v_add_f32_e32 v35, v41, v34
	v_fma_f32 v34, v59, s6, -v43
	v_fmac_f32_e32 v42, 0xbf68dda4, v38
	v_add_f32_e32 v34, v34, v15
	v_lshrrev_b32_e32 v15, 3, v16
	v_fmac_f32_e32 v44, 0xbf68dda4, v60
	v_add_f32_e32 v42, v42, v28
	v_mov_b32_e32 v28, v43
	v_mul_u32_u24_e32 v15, 0x58, v15
	v_add_f32_e32 v25, v44, v25
	v_fmac_f32_e32 v28, 0xbe11bafb, v59
	v_mul_f32_e32 v44, 0xbe11bafb, v61
	v_or_b32_e32 v4, v15, v4
	v_add_f32_e32 v28, v28, v29
	v_mov_b32_e32 v29, v44
	v_lshlrev_b32_e32 v4, 3, v4
	v_fmac_f32_e32 v29, 0x3f7d64f0, v60
	v_fmac_f32_e32 v44, 0xbf7d64f0, v60
	v_add3_u32 v4, 0, v4, v32
	v_add_f32_e32 v29, v29, v42
	v_add_f32_e32 v35, v44, v35
	ds_write2_b64 v4, v[0:1], v[7:8] offset1:8
	ds_write2_b64 v4, v[11:12], v[20:21] offset0:16 offset1:24
	ds_write2_b64 v4, v[24:25], v[28:29] offset0:32 offset1:40
	;; [unrolled: 1-line block ×4, first 2 shown]
	ds_write_b64 v4, v[9:10] offset:640
	v_mul_u32_u24_e32 v0, 10, v16
	v_lshlrev_b32_e32 v0, 3, v0
	s_waitcnt lgkmcnt(0)
	s_barrier
	global_load_dwordx4 v[7:10], v0, s[8:9] offset:688
	global_load_dwordx4 v[11:14], v0, s[8:9] offset:704
	;; [unrolled: 1-line block ×5, first 2 shown]
	ds_read2_b64 v[38:41], v33 offset0:88 offset1:176
	ds_read2_b64 v[42:45], v6 offset0:8 offset1:96
	s_waitcnt vmcnt(4) lgkmcnt(1)
	v_mul_f32_e32 v15, v8, v39
	v_mul_f32_e32 v0, v8, v38
	v_fmac_f32_e32 v15, v7, v38
	v_fma_f32 v28, v7, v39, -v0
	ds_read2_b64 v[4:7], v5 offset0:56 offset1:144
	v_mul_f32_e32 v0, v10, v40
	v_mul_f32_e32 v29, v10, v41
	v_fma_f32 v32, v9, v41, -v0
	s_waitcnt vmcnt(3) lgkmcnt(1)
	v_mul_f32_e32 v33, v12, v43
	v_mul_f32_e32 v0, v12, v42
	v_fmac_f32_e32 v29, v9, v40
	v_fmac_f32_e32 v33, v11, v42
	v_fma_f32 v12, v11, v43, -v0
	ds_read2_b64 v[8:11], v3 offset0:104 offset1:192
	v_mul_f32_e32 v38, v14, v45
	v_mul_f32_e32 v0, v14, v44
	v_fmac_f32_e32 v38, v13, v44
	v_fma_f32 v13, v13, v45, -v0
	s_waitcnt vmcnt(2) lgkmcnt(1)
	v_mul_f32_e32 v14, v21, v5
	v_mul_f32_e32 v0, v21, v4
	v_fmac_f32_e32 v14, v20, v4
	v_fma_f32 v20, v20, v5, -v0
	v_mul_f32_e32 v21, v7, v23
	v_mul_f32_e32 v0, v6, v23
	v_fmac_f32_e32 v21, v6, v22
	v_fma_f32 v22, v7, v22, -v0
	v_add_u32_e32 v0, 0x1800, v17
	s_waitcnt vmcnt(1) lgkmcnt(0)
	v_mul_f32_e32 v23, v9, v25
	v_mul_f32_e32 v1, v8, v25
	ds_read2_b64 v[4:7], v0 offset0:24 offset1:112
	v_fmac_f32_e32 v23, v8, v24
	v_fma_f32 v8, v9, v24, -v1
	v_mul_f32_e32 v9, v11, v27
	v_mul_f32_e32 v0, v10, v27
	v_fmac_f32_e32 v9, v10, v26
	v_fma_f32 v10, v11, v26, -v0
	ds_read_b64 v[0:1], v31
	s_waitcnt vmcnt(0) lgkmcnt(1)
	v_mul_f32_e32 v11, v5, v35
	v_fmac_f32_e32 v11, v4, v34
	v_mul_f32_e32 v4, v4, v35
	v_fma_f32 v24, v5, v34, -v4
	v_mul_f32_e32 v25, v7, v37
	v_mul_f32_e32 v4, v6, v37
	s_waitcnt lgkmcnt(0)
	v_add_f32_e32 v5, v28, v1
	v_fmac_f32_e32 v25, v6, v36
	v_fma_f32 v6, v7, v36, -v4
	v_add_f32_e32 v4, v15, v0
	v_add_f32_e32 v5, v5, v32
	;; [unrolled: 1-line block ×19, first 2 shown]
	v_sub_f32_e32 v6, v28, v6
	v_add_f32_e32 v4, v4, v25
	v_add_f32_e32 v7, v15, v25
	v_sub_f32_e32 v15, v15, v25
	v_mul_f32_e32 v25, 0xbf0a6770, v6
	v_mul_f32_e32 v28, 0xbf68dda4, v6
	;; [unrolled: 1-line block ×5, first 2 shown]
	v_mov_b32_e32 v27, v25
	v_mov_b32_e32 v31, v28
	;; [unrolled: 1-line block ×5, first 2 shown]
	v_fmac_f32_e32 v27, 0x3f575c64, v7
	v_fma_f32 v25, v7, s4, -v25
	v_fmac_f32_e32 v31, 0x3ed4b147, v7
	v_fma_f32 v28, v7, s5, -v28
	;; [unrolled: 2-line block ×5, first 2 shown]
	v_mul_f32_e32 v7, 0x3f575c64, v26
	v_mul_f32_e32 v41, 0x3ed4b147, v26
	;; [unrolled: 1-line block ×5, first 2 shown]
	v_mov_b32_e32 v40, v7
	v_mov_b32_e32 v42, v41
	v_mov_b32_e32 v44, v43
	v_mov_b32_e32 v46, v45
	v_mov_b32_e32 v47, v26
	v_fmac_f32_e32 v40, 0x3f0a6770, v15
	v_fmac_f32_e32 v7, 0xbf0a6770, v15
	;; [unrolled: 1-line block ×10, first 2 shown]
	v_add_f32_e32 v15, v27, v0
	v_add_f32_e32 v27, v40, v1
	v_add_f32_e32 v7, v7, v1
	v_add_f32_e32 v40, v42, v1
	v_add_f32_e32 v41, v41, v1
	v_add_f32_e32 v42, v44, v1
	v_add_f32_e32 v43, v43, v1
	v_add_f32_e32 v44, v46, v1
	v_add_f32_e32 v45, v45, v1
	v_add_f32_e32 v46, v47, v1
	v_add_f32_e32 v1, v26, v1
	v_add_f32_e32 v26, v32, v24
	v_sub_f32_e32 v24, v32, v24
	v_add_f32_e32 v25, v25, v0
	v_add_f32_e32 v31, v31, v0
	;; [unrolled: 1-line block ×10, first 2 shown]
	v_sub_f32_e32 v11, v29, v11
	v_mul_f32_e32 v29, 0xbf68dda4, v24
	v_mov_b32_e32 v32, v29
	v_fmac_f32_e32 v32, 0x3ed4b147, v6
	v_add_f32_e32 v15, v32, v15
	v_mul_f32_e32 v32, 0x3ed4b147, v26
	v_fma_f32 v29, v6, s5, -v29
	v_mov_b32_e32 v47, v32
	v_add_f32_e32 v25, v29, v25
	v_fmac_f32_e32 v32, 0xbf68dda4, v11
	v_mul_f32_e32 v29, 0xbf4178ce, v24
	v_add_f32_e32 v7, v32, v7
	v_mov_b32_e32 v32, v29
	v_fmac_f32_e32 v32, 0xbf27a4f4, v6
	v_fmac_f32_e32 v47, 0x3f68dda4, v11
	v_add_f32_e32 v31, v32, v31
	v_mul_f32_e32 v32, 0xbf27a4f4, v26
	v_add_f32_e32 v27, v47, v27
	v_mov_b32_e32 v47, v32
	v_fma_f32 v29, v6, s7, -v29
	v_fmac_f32_e32 v32, 0xbf4178ce, v11
	v_add_f32_e32 v28, v29, v28
	v_add_f32_e32 v29, v32, v41
	v_mul_f32_e32 v32, 0x3e903f40, v24
	v_mov_b32_e32 v41, v32
	v_fmac_f32_e32 v41, 0xbf75a155, v6
	v_fmac_f32_e32 v47, 0x3f4178ce, v11
	v_add_f32_e32 v35, v41, v35
	v_mul_f32_e32 v41, 0xbf75a155, v26
	v_add_f32_e32 v40, v47, v40
	v_mov_b32_e32 v47, v41
	v_fma_f32 v32, v6, s10, -v32
	v_fmac_f32_e32 v41, 0x3e903f40, v11
	v_add_f32_e32 v32, v32, v34
	v_add_f32_e32 v34, v41, v43
	v_mul_f32_e32 v41, 0x3f7d64f0, v24
	v_mov_b32_e32 v43, v41
	v_fmac_f32_e32 v43, 0xbe11bafb, v6
	v_fmac_f32_e32 v47, 0xbe903f40, v11
	v_add_f32_e32 v37, v43, v37
	v_mul_f32_e32 v43, 0xbe11bafb, v26
	v_add_f32_e32 v42, v47, v42
	v_mov_b32_e32 v47, v43
	v_fma_f32 v41, v6, s6, -v41
	v_fmac_f32_e32 v43, 0x3f7d64f0, v11
	v_mul_f32_e32 v24, 0x3f0a6770, v24
	v_add_f32_e32 v36, v41, v36
	v_add_f32_e32 v41, v43, v45
	v_mov_b32_e32 v43, v24
	v_fmac_f32_e32 v43, 0x3f575c64, v6
	v_mul_f32_e32 v26, 0x3f575c64, v26
	v_add_f32_e32 v39, v43, v39
	v_mov_b32_e32 v43, v26
	v_fmac_f32_e32 v47, 0xbf7d64f0, v11
	v_fmac_f32_e32 v43, 0xbf0a6770, v11
	;; [unrolled: 1-line block ×3, first 2 shown]
	v_add_f32_e32 v11, v12, v10
	v_sub_f32_e32 v10, v12, v10
	v_fma_f32 v6, v6, s4, -v24
	v_mul_f32_e32 v12, 0xbf7d64f0, v10
	v_add_f32_e32 v0, v6, v0
	v_add_f32_e32 v6, v33, v9
	v_mov_b32_e32 v24, v12
	v_fmac_f32_e32 v24, 0xbe11bafb, v6
	v_sub_f32_e32 v9, v33, v9
	v_add_f32_e32 v15, v24, v15
	v_mul_f32_e32 v24, 0xbe11bafb, v11
	v_add_f32_e32 v1, v26, v1
	v_mov_b32_e32 v26, v24
	v_fmac_f32_e32 v24, 0xbf7d64f0, v9
	v_fma_f32 v12, v6, s6, -v12
	v_add_f32_e32 v7, v24, v7
	v_mul_f32_e32 v24, 0x3e903f40, v10
	v_fmac_f32_e32 v26, 0x3f7d64f0, v9
	v_add_f32_e32 v12, v12, v25
	v_mov_b32_e32 v25, v24
	v_add_f32_e32 v26, v26, v27
	v_fmac_f32_e32 v25, 0xbf75a155, v6
	v_mul_f32_e32 v27, 0xbf75a155, v11
	v_fma_f32 v24, v6, s10, -v24
	v_add_f32_e32 v25, v25, v31
	v_mov_b32_e32 v31, v27
	v_add_f32_e32 v24, v24, v28
	v_fmac_f32_e32 v27, 0x3e903f40, v9
	v_mul_f32_e32 v28, 0x3f68dda4, v10
	v_add_f32_e32 v27, v27, v29
	v_mov_b32_e32 v29, v28
	v_fmac_f32_e32 v29, 0x3ed4b147, v6
	v_mul_f32_e32 v33, 0x3ed4b147, v11
	v_add_f32_e32 v29, v29, v35
	v_mov_b32_e32 v35, v33
	v_fma_f32 v28, v6, s5, -v28
	v_fmac_f32_e32 v33, 0x3f68dda4, v9
	v_add_f32_e32 v28, v28, v32
	v_add_f32_e32 v32, v33, v34
	v_mul_f32_e32 v33, 0xbf0a6770, v10
	v_mov_b32_e32 v34, v33
	v_fmac_f32_e32 v34, 0x3f575c64, v6
	v_fmac_f32_e32 v31, 0xbe903f40, v9
	v_add_f32_e32 v34, v34, v37
	v_mul_f32_e32 v37, 0x3f575c64, v11
	v_add_f32_e32 v31, v31, v40
	v_mov_b32_e32 v40, v37
	v_fma_f32 v33, v6, s4, -v33
	v_fmac_f32_e32 v37, 0xbf0a6770, v9
	v_mul_f32_e32 v10, 0xbf4178ce, v10
	v_add_f32_e32 v33, v33, v36
	v_add_f32_e32 v36, v37, v41
	v_mov_b32_e32 v37, v10
	v_fmac_f32_e32 v37, 0xbf27a4f4, v6
	v_mul_f32_e32 v11, 0xbf27a4f4, v11
	v_add_f32_e32 v37, v37, v39
	v_mov_b32_e32 v39, v11
	v_fmac_f32_e32 v35, 0xbf68dda4, v9
	v_fmac_f32_e32 v40, 0x3f0a6770, v9
	v_fmac_f32_e32 v39, 0x3f4178ce, v9
	v_fmac_f32_e32 v11, 0xbf4178ce, v9
	v_add_f32_e32 v9, v13, v8
	v_sub_f32_e32 v8, v13, v8
	v_fma_f32 v6, v6, s7, -v10
	v_add_f32_e32 v1, v11, v1
	v_mul_f32_e32 v11, 0xbf4178ce, v8
	v_add_f32_e32 v0, v6, v0
	v_add_f32_e32 v6, v38, v23
	v_mov_b32_e32 v13, v11
	v_fmac_f32_e32 v13, 0xbf27a4f4, v6
	v_sub_f32_e32 v10, v38, v23
	v_add_f32_e32 v13, v13, v15
	v_mul_f32_e32 v15, 0xbf27a4f4, v9
	v_fma_f32 v11, v6, s7, -v11
	v_mov_b32_e32 v23, v15
	v_add_f32_e32 v11, v11, v12
	v_fmac_f32_e32 v15, 0xbf4178ce, v10
	v_mul_f32_e32 v12, 0x3f7d64f0, v8
	v_add_f32_e32 v7, v15, v7
	v_mov_b32_e32 v15, v12
	v_fmac_f32_e32 v15, 0xbe11bafb, v6
	v_fmac_f32_e32 v23, 0x3f4178ce, v10
	v_add_f32_e32 v15, v15, v25
	v_mul_f32_e32 v25, 0xbe11bafb, v9
	v_add_f32_e32 v23, v23, v26
	v_mov_b32_e32 v26, v25
	v_fma_f32 v12, v6, s6, -v12
	v_fmac_f32_e32 v25, 0x3f7d64f0, v10
	v_add_f32_e32 v12, v12, v24
	v_add_f32_e32 v24, v25, v27
	v_mul_f32_e32 v25, 0xbf0a6770, v8
	v_mov_b32_e32 v27, v25
	v_fmac_f32_e32 v27, 0x3f575c64, v6
	v_fmac_f32_e32 v26, 0xbf7d64f0, v10
	v_add_f32_e32 v27, v27, v29
	v_mul_f32_e32 v29, 0x3f575c64, v9
	v_add_f32_e32 v26, v26, v31
	v_mov_b32_e32 v31, v29
	v_fma_f32 v25, v6, s4, -v25
	v_fmac_f32_e32 v29, 0xbf0a6770, v10
	v_add_f32_e32 v25, v25, v28
	v_add_f32_e32 v28, v29, v32
	v_mul_f32_e32 v29, 0xbe903f40, v8
	v_mov_b32_e32 v32, v29
	v_fmac_f32_e32 v32, 0xbf75a155, v6
	v_add_f32_e32 v35, v35, v42
	v_fmac_f32_e32 v31, 0x3f0a6770, v10
	v_add_f32_e32 v32, v32, v34
	v_mul_f32_e32 v34, 0xbf75a155, v9
	v_add_f32_e32 v44, v47, v44
	v_add_f32_e32 v31, v31, v35
	v_mov_b32_e32 v35, v34
	v_fma_f32 v29, v6, s10, -v29
	v_fmac_f32_e32 v34, 0xbe903f40, v10
	v_mul_f32_e32 v8, 0x3f68dda4, v8
	v_mul_f32_e32 v9, 0x3ed4b147, v9
	v_add_f32_e32 v43, v43, v46
	v_add_f32_e32 v40, v40, v44
	v_fmac_f32_e32 v35, 0x3e903f40, v10
	v_add_f32_e32 v29, v29, v33
	v_add_f32_e32 v33, v34, v36
	v_mov_b32_e32 v34, v8
	v_mov_b32_e32 v36, v9
	v_add_f32_e32 v39, v39, v43
	v_add_f32_e32 v35, v35, v40
	v_fmac_f32_e32 v34, 0x3ed4b147, v6
	v_fmac_f32_e32 v36, 0xbf68dda4, v10
	v_fma_f32 v6, v6, s5, -v8
	v_add_f32_e32 v40, v20, v22
	v_sub_f32_e32 v42, v20, v22
	v_add_f32_e32 v34, v34, v37
	v_add_f32_e32 v36, v36, v39
	;; [unrolled: 1-line block ×3, first 2 shown]
	v_fmac_f32_e32 v9, 0x3f68dda4, v10
	v_add_f32_e32 v39, v14, v21
	v_sub_f32_e32 v41, v14, v21
	v_mul_f32_e32 v6, 0xbe903f40, v42
	v_mul_f32_e32 v8, 0xbf75a155, v40
	v_add_f32_e32 v38, v9, v1
	v_mov_b32_e32 v0, v6
	v_mov_b32_e32 v1, v8
	v_fma_f32 v6, v39, s10, -v6
	v_fmac_f32_e32 v8, 0xbe903f40, v41
	v_mul_f32_e32 v10, 0x3f0a6770, v42
	v_add_f32_e32 v6, v6, v11
	v_add_f32_e32 v7, v8, v7
	v_mov_b32_e32 v8, v10
	v_mul_f32_e32 v11, 0x3f575c64, v40
	v_fma_f32 v10, v39, s4, -v10
	v_mul_f32_e32 v14, 0xbf4178ce, v42
	v_fmac_f32_e32 v8, 0x3f575c64, v39
	v_mov_b32_e32 v9, v11
	v_add_f32_e32 v10, v10, v12
	v_mov_b32_e32 v12, v14
	v_fmac_f32_e32 v0, 0xbf75a155, v39
	v_fmac_f32_e32 v1, 0x3e903f40, v41
	v_add_f32_e32 v8, v8, v15
	v_fmac_f32_e32 v9, 0xbf0a6770, v41
	v_fmac_f32_e32 v12, 0xbf27a4f4, v39
	v_mul_f32_e32 v15, 0xbf27a4f4, v40
	v_add_f32_e32 v0, v0, v13
	v_add_f32_e32 v1, v1, v23
	;; [unrolled: 1-line block ×3, first 2 shown]
	v_fmac_f32_e32 v11, 0x3f0a6770, v41
	v_add_f32_e32 v12, v12, v27
	v_mov_b32_e32 v13, v15
	v_fma_f32 v14, v39, s7, -v14
	v_mul_f32_e32 v22, 0x3f68dda4, v42
	v_mul_f32_e32 v23, 0x3ed4b147, v40
	;; [unrolled: 1-line block ×4, first 2 shown]
	v_add_f32_e32 v11, v11, v24
	v_fmac_f32_e32 v13, 0x3f4178ce, v41
	v_add_f32_e32 v14, v14, v25
	v_mov_b32_e32 v20, v22
	v_mov_b32_e32 v21, v23
	;; [unrolled: 1-line block ×4, first 2 shown]
	v_add_f32_e32 v13, v13, v31
	v_fmac_f32_e32 v20, 0x3ed4b147, v39
	v_fmac_f32_e32 v21, 0xbf68dda4, v41
	;; [unrolled: 1-line block ×4, first 2 shown]
	s_barrier
	ds_write2_b64 v17, v[4:5], v[0:1] offset1:88
	v_add_u32_e32 v0, 0x400, v17
	v_fmac_f32_e32 v15, 0xbf4178ce, v41
	v_add_f32_e32 v20, v20, v32
	v_add_f32_e32 v21, v21, v35
	v_fma_f32 v22, v39, s5, -v22
	v_fmac_f32_e32 v23, 0x3f68dda4, v41
	v_add_f32_e32 v24, v24, v34
	v_add_f32_e32 v25, v25, v36
	v_fma_f32 v26, v39, s6, -v26
	v_fmac_f32_e32 v27, 0xbf7d64f0, v41
	ds_write2_b64 v0, v[8:9], v[12:13] offset0:48 offset1:136
	v_add_u32_e32 v0, 0x800, v17
	v_add_f32_e32 v15, v15, v28
	v_add_f32_e32 v22, v22, v29
	;; [unrolled: 1-line block ×5, first 2 shown]
	ds_write2_b64 v0, v[20:21], v[24:25] offset0:96 offset1:184
	ds_write2_b64 v3, v[26:27], v[22:23] offset0:16 offset1:104
	;; [unrolled: 1-line block ×3, first 2 shown]
	ds_write_b64 v17, v[6:7] offset:7040
	s_waitcnt lgkmcnt(0)
	s_barrier
	s_and_saveexec_b64 s[4:5], s[0:1]
	s_cbranch_execz .LBB0_31
; %bb.30:
	v_lshl_add_u32 v6, v16, 3, v30
	v_mov_b32_e32 v17, 0
	ds_read2_b64 v[0:3], v6 offset1:88
	v_mov_b32_e32 v4, s3
	v_add_co_u32_e32 v7, vcc, s2, v18
	v_addc_co_u32_e32 v8, vcc, v4, v19, vcc
	v_lshlrev_b64 v[4:5], 3, v[16:17]
	v_add_co_u32_e32 v4, vcc, v7, v4
	v_addc_co_u32_e32 v5, vcc, v8, v5, vcc
	s_waitcnt lgkmcnt(0)
	global_store_dwordx2 v[4:5], v[0:1], off
	v_add_u32_e32 v0, 0x58, v16
	v_mov_b32_e32 v1, v17
	v_lshlrev_b64 v[0:1], 3, v[0:1]
	v_add_u32_e32 v4, 0xb0, v16
	v_add_co_u32_e32 v0, vcc, v7, v0
	v_addc_co_u32_e32 v1, vcc, v8, v1, vcc
	global_store_dwordx2 v[0:1], v[2:3], off
	v_add_u32_e32 v0, 0x400, v6
	v_mov_b32_e32 v5, v17
	ds_read2_b64 v[0:3], v0 offset0:48 offset1:136
	v_lshlrev_b64 v[4:5], 3, v[4:5]
	v_add_co_u32_e32 v4, vcc, v7, v4
	v_addc_co_u32_e32 v5, vcc, v8, v5, vcc
	s_waitcnt lgkmcnt(0)
	global_store_dwordx2 v[4:5], v[0:1], off
	v_add_u32_e32 v0, 0x108, v16
	v_mov_b32_e32 v1, v17
	v_lshlrev_b64 v[0:1], 3, v[0:1]
	v_add_u32_e32 v4, 0x160, v16
	v_add_co_u32_e32 v0, vcc, v7, v0
	v_addc_co_u32_e32 v1, vcc, v8, v1, vcc
	global_store_dwordx2 v[0:1], v[2:3], off
	v_add_u32_e32 v0, 0x800, v6
	v_mov_b32_e32 v5, v17
	ds_read2_b64 v[0:3], v0 offset0:96 offset1:184
	;; [unrolled: 15-line block ×4, first 2 shown]
	v_lshlrev_b64 v[4:5], 3, v[4:5]
	v_add_co_u32_e32 v4, vcc, v7, v4
	v_addc_co_u32_e32 v5, vcc, v8, v5, vcc
	s_waitcnt lgkmcnt(0)
	global_store_dwordx2 v[4:5], v[0:1], off
	v_add_u32_e32 v0, 0x318, v16
	v_mov_b32_e32 v1, v17
	v_lshlrev_b64 v[0:1], 3, v[0:1]
	v_add_u32_e32 v16, 0x370, v16
	v_add_co_u32_e32 v0, vcc, v7, v0
	v_addc_co_u32_e32 v1, vcc, v8, v1, vcc
	global_store_dwordx2 v[0:1], v[2:3], off
	ds_read_b64 v[0:1], v6 offset:7040
	v_lshlrev_b64 v[2:3], 3, v[16:17]
	v_add_co_u32_e32 v2, vcc, v7, v2
	v_addc_co_u32_e32 v3, vcc, v8, v3, vcc
	s_waitcnt lgkmcnt(0)
	global_store_dwordx2 v[2:3], v[0:1], off
.LBB0_31:
	s_endpgm
	.section	.rodata,"a",@progbits
	.p2align	6, 0x0
	.amdhsa_kernel fft_rtc_back_len968_factors_2_2_2_11_11_wgs_176_tpt_88_sp_ip_CI_unitstride_sbrr_C2R_dirReg
		.amdhsa_group_segment_fixed_size 0
		.amdhsa_private_segment_fixed_size 0
		.amdhsa_kernarg_size 88
		.amdhsa_user_sgpr_count 6
		.amdhsa_user_sgpr_private_segment_buffer 1
		.amdhsa_user_sgpr_dispatch_ptr 0
		.amdhsa_user_sgpr_queue_ptr 0
		.amdhsa_user_sgpr_kernarg_segment_ptr 1
		.amdhsa_user_sgpr_dispatch_id 0
		.amdhsa_user_sgpr_flat_scratch_init 0
		.amdhsa_user_sgpr_private_segment_size 0
		.amdhsa_uses_dynamic_stack 0
		.amdhsa_system_sgpr_private_segment_wavefront_offset 0
		.amdhsa_system_sgpr_workgroup_id_x 1
		.amdhsa_system_sgpr_workgroup_id_y 0
		.amdhsa_system_sgpr_workgroup_id_z 0
		.amdhsa_system_sgpr_workgroup_info 0
		.amdhsa_system_vgpr_workitem_id 0
		.amdhsa_next_free_vgpr 63
		.amdhsa_next_free_sgpr 22
		.amdhsa_reserve_vcc 1
		.amdhsa_reserve_flat_scratch 0
		.amdhsa_float_round_mode_32 0
		.amdhsa_float_round_mode_16_64 0
		.amdhsa_float_denorm_mode_32 3
		.amdhsa_float_denorm_mode_16_64 3
		.amdhsa_dx10_clamp 1
		.amdhsa_ieee_mode 1
		.amdhsa_fp16_overflow 0
		.amdhsa_exception_fp_ieee_invalid_op 0
		.amdhsa_exception_fp_denorm_src 0
		.amdhsa_exception_fp_ieee_div_zero 0
		.amdhsa_exception_fp_ieee_overflow 0
		.amdhsa_exception_fp_ieee_underflow 0
		.amdhsa_exception_fp_ieee_inexact 0
		.amdhsa_exception_int_div_zero 0
	.end_amdhsa_kernel
	.text
.Lfunc_end0:
	.size	fft_rtc_back_len968_factors_2_2_2_11_11_wgs_176_tpt_88_sp_ip_CI_unitstride_sbrr_C2R_dirReg, .Lfunc_end0-fft_rtc_back_len968_factors_2_2_2_11_11_wgs_176_tpt_88_sp_ip_CI_unitstride_sbrr_C2R_dirReg
                                        ; -- End function
	.section	.AMDGPU.csdata,"",@progbits
; Kernel info:
; codeLenInByte = 9316
; NumSgprs: 26
; NumVgprs: 63
; ScratchSize: 0
; MemoryBound: 0
; FloatMode: 240
; IeeeMode: 1
; LDSByteSize: 0 bytes/workgroup (compile time only)
; SGPRBlocks: 3
; VGPRBlocks: 15
; NumSGPRsForWavesPerEU: 26
; NumVGPRsForWavesPerEU: 63
; Occupancy: 4
; WaveLimiterHint : 1
; COMPUTE_PGM_RSRC2:SCRATCH_EN: 0
; COMPUTE_PGM_RSRC2:USER_SGPR: 6
; COMPUTE_PGM_RSRC2:TRAP_HANDLER: 0
; COMPUTE_PGM_RSRC2:TGID_X_EN: 1
; COMPUTE_PGM_RSRC2:TGID_Y_EN: 0
; COMPUTE_PGM_RSRC2:TGID_Z_EN: 0
; COMPUTE_PGM_RSRC2:TIDIG_COMP_CNT: 0
	.type	__hip_cuid_f5f2c3b9325e39a6,@object ; @__hip_cuid_f5f2c3b9325e39a6
	.section	.bss,"aw",@nobits
	.globl	__hip_cuid_f5f2c3b9325e39a6
__hip_cuid_f5f2c3b9325e39a6:
	.byte	0                               ; 0x0
	.size	__hip_cuid_f5f2c3b9325e39a6, 1

	.ident	"AMD clang version 19.0.0git (https://github.com/RadeonOpenCompute/llvm-project roc-6.4.0 25133 c7fe45cf4b819c5991fe208aaa96edf142730f1d)"
	.section	".note.GNU-stack","",@progbits
	.addrsig
	.addrsig_sym __hip_cuid_f5f2c3b9325e39a6
	.amdgpu_metadata
---
amdhsa.kernels:
  - .args:
      - .actual_access:  read_only
        .address_space:  global
        .offset:         0
        .size:           8
        .value_kind:     global_buffer
      - .offset:         8
        .size:           8
        .value_kind:     by_value
      - .actual_access:  read_only
        .address_space:  global
        .offset:         16
        .size:           8
        .value_kind:     global_buffer
      - .actual_access:  read_only
        .address_space:  global
        .offset:         24
        .size:           8
        .value_kind:     global_buffer
      - .offset:         32
        .size:           8
        .value_kind:     by_value
      - .actual_access:  read_only
        .address_space:  global
        .offset:         40
        .size:           8
        .value_kind:     global_buffer
      - .actual_access:  read_only
        .address_space:  global
        .offset:         48
        .size:           8
        .value_kind:     global_buffer
      - .offset:         56
        .size:           4
        .value_kind:     by_value
      - .actual_access:  read_only
        .address_space:  global
        .offset:         64
        .size:           8
        .value_kind:     global_buffer
      - .actual_access:  read_only
        .address_space:  global
        .offset:         72
        .size:           8
        .value_kind:     global_buffer
      - .address_space:  global
        .offset:         80
        .size:           8
        .value_kind:     global_buffer
    .group_segment_fixed_size: 0
    .kernarg_segment_align: 8
    .kernarg_segment_size: 88
    .language:       OpenCL C
    .language_version:
      - 2
      - 0
    .max_flat_workgroup_size: 176
    .name:           fft_rtc_back_len968_factors_2_2_2_11_11_wgs_176_tpt_88_sp_ip_CI_unitstride_sbrr_C2R_dirReg
    .private_segment_fixed_size: 0
    .sgpr_count:     26
    .sgpr_spill_count: 0
    .symbol:         fft_rtc_back_len968_factors_2_2_2_11_11_wgs_176_tpt_88_sp_ip_CI_unitstride_sbrr_C2R_dirReg.kd
    .uniform_work_group_size: 1
    .uses_dynamic_stack: false
    .vgpr_count:     63
    .vgpr_spill_count: 0
    .wavefront_size: 64
amdhsa.target:   amdgcn-amd-amdhsa--gfx906
amdhsa.version:
  - 1
  - 2
...

	.end_amdgpu_metadata
